;; amdgpu-corpus repo=ROCm/rocFFT kind=compiled arch=gfx950 opt=O3
	.text
	.amdgcn_target "amdgcn-amd-amdhsa--gfx950"
	.amdhsa_code_object_version 6
	.protected	fft_rtc_fwd_len272_factors_16_17_wgs_119_tpt_17_halfLds_sp_ip_CI_unitstride_sbrr_dirReg ; -- Begin function fft_rtc_fwd_len272_factors_16_17_wgs_119_tpt_17_halfLds_sp_ip_CI_unitstride_sbrr_dirReg
	.globl	fft_rtc_fwd_len272_factors_16_17_wgs_119_tpt_17_halfLds_sp_ip_CI_unitstride_sbrr_dirReg
	.p2align	8
	.type	fft_rtc_fwd_len272_factors_16_17_wgs_119_tpt_17_halfLds_sp_ip_CI_unitstride_sbrr_dirReg,@function
fft_rtc_fwd_len272_factors_16_17_wgs_119_tpt_17_halfLds_sp_ip_CI_unitstride_sbrr_dirReg: ; @fft_rtc_fwd_len272_factors_16_17_wgs_119_tpt_17_halfLds_sp_ip_CI_unitstride_sbrr_dirReg
; %bb.0:
	s_load_dwordx2 s[8:9], s[0:1], 0x50
	s_load_dwordx4 s[4:7], s[0:1], 0x0
	s_load_dwordx2 s[10:11], s[0:1], 0x18
	v_mul_u32_u24_e32 v1, 0xf10, v0
	v_lshrrev_b32_e32 v2, 16, v1
	v_mad_u64_u32 v[6:7], s[2:3], s2, 7, v[2:3]
	v_mov_b32_e32 v4, 0
	v_mov_b32_e32 v7, v4
	s_waitcnt lgkmcnt(0)
	v_cmp_lt_u64_e64 s[2:3], s[6:7], 2
	s_and_b64 vcc, exec, s[2:3]
	v_mov_b64_e32 v[2:3], 0
	v_mov_b64_e32 v[10:11], v[6:7]
	s_cbranch_vccnz .LBB0_8
; %bb.1:
	s_load_dwordx2 s[2:3], s[0:1], 0x10
	s_add_u32 s12, s10, 8
	s_addc_u32 s13, s11, 0
	s_mov_b64 s[14:15], 1
	v_mov_b64_e32 v[2:3], 0
	s_waitcnt lgkmcnt(0)
	s_add_u32 s16, s2, 8
	s_addc_u32 s17, s3, 0
	v_mov_b64_e32 v[8:9], v[6:7]
.LBB0_2:                                ; =>This Inner Loop Header: Depth=1
	s_load_dwordx2 s[18:19], s[16:17], 0x0
                                        ; implicit-def: $vgpr10_vgpr11
	s_waitcnt lgkmcnt(0)
	v_or_b32_e32 v5, s19, v9
	v_cmp_ne_u64_e32 vcc, 0, v[4:5]
	s_and_saveexec_b64 s[2:3], vcc
	s_xor_b64 s[20:21], exec, s[2:3]
	s_cbranch_execz .LBB0_4
; %bb.3:                                ;   in Loop: Header=BB0_2 Depth=1
	v_cvt_f32_u32_e32 v1, s18
	v_cvt_f32_u32_e32 v5, s19
	s_sub_u32 s2, 0, s18
	s_subb_u32 s3, 0, s19
	v_fmac_f32_e32 v1, 0x4f800000, v5
	v_rcp_f32_e32 v1, v1
	s_nop 0
	v_mul_f32_e32 v1, 0x5f7ffffc, v1
	v_mul_f32_e32 v5, 0x2f800000, v1
	v_trunc_f32_e32 v5, v5
	v_fmac_f32_e32 v1, 0xcf800000, v5
	v_cvt_u32_f32_e32 v5, v5
	v_cvt_u32_f32_e32 v1, v1
	v_mul_lo_u32 v7, s2, v5
	v_mul_hi_u32 v10, s2, v1
	v_mul_lo_u32 v11, s3, v1
	v_add_u32_e32 v7, v10, v7
	v_mul_lo_u32 v14, s2, v1
	v_add_u32_e32 v7, v7, v11
	v_mul_hi_u32 v10, v1, v14
	v_mul_hi_u32 v13, v1, v7
	v_mul_lo_u32 v12, v1, v7
	v_mov_b32_e32 v11, v4
	v_lshl_add_u64 v[10:11], v[10:11], 0, v[12:13]
	v_mul_hi_u32 v13, v5, v14
	v_mul_lo_u32 v14, v5, v14
	v_add_co_u32_e32 v10, vcc, v10, v14
	v_mul_hi_u32 v12, v5, v7
	s_nop 0
	v_addc_co_u32_e32 v10, vcc, v11, v13, vcc
	v_mov_b32_e32 v11, v4
	s_nop 0
	v_addc_co_u32_e32 v13, vcc, 0, v12, vcc
	v_mul_lo_u32 v12, v5, v7
	v_lshl_add_u64 v[10:11], v[10:11], 0, v[12:13]
	v_add_co_u32_e32 v1, vcc, v1, v10
	v_mul_hi_u32 v10, s2, v1
	s_nop 0
	v_addc_co_u32_e32 v5, vcc, v5, v11, vcc
	v_mul_lo_u32 v7, s2, v5
	v_add_u32_e32 v7, v10, v7
	v_mul_lo_u32 v10, s3, v1
	v_add_u32_e32 v7, v7, v10
	v_mul_lo_u32 v12, s2, v1
	v_mul_hi_u32 v15, v5, v12
	v_mul_lo_u32 v16, v5, v12
	v_mul_hi_u32 v11, v1, v7
	;; [unrolled: 2-line block ×3, first 2 shown]
	v_mov_b32_e32 v13, v4
	v_lshl_add_u64 v[10:11], v[12:13], 0, v[10:11]
	v_add_co_u32_e32 v10, vcc, v10, v16
	v_mul_hi_u32 v14, v5, v7
	s_nop 0
	v_addc_co_u32_e32 v10, vcc, v11, v15, vcc
	v_mul_lo_u32 v12, v5, v7
	s_nop 0
	v_addc_co_u32_e32 v13, vcc, 0, v14, vcc
	v_mov_b32_e32 v11, v4
	v_lshl_add_u64 v[10:11], v[10:11], 0, v[12:13]
	v_add_co_u32_e32 v1, vcc, v1, v10
	v_mul_hi_u32 v12, v8, v1
	s_nop 0
	v_addc_co_u32_e32 v5, vcc, v5, v11, vcc
	v_mad_u64_u32 v[10:11], s[2:3], v8, v5, 0
	v_mov_b32_e32 v13, v4
	v_lshl_add_u64 v[10:11], v[12:13], 0, v[10:11]
	v_mad_u64_u32 v[14:15], s[2:3], v9, v1, 0
	v_add_co_u32_e32 v1, vcc, v10, v14
	v_mad_u64_u32 v[12:13], s[2:3], v9, v5, 0
	s_nop 0
	v_addc_co_u32_e32 v10, vcc, v11, v15, vcc
	v_mov_b32_e32 v11, v4
	s_nop 0
	v_addc_co_u32_e32 v13, vcc, 0, v13, vcc
	v_lshl_add_u64 v[10:11], v[10:11], 0, v[12:13]
	v_mul_lo_u32 v1, s19, v10
	v_mul_lo_u32 v5, s18, v11
	v_mad_u64_u32 v[12:13], s[2:3], s18, v10, 0
	v_add3_u32 v1, v13, v5, v1
	v_sub_u32_e32 v5, v9, v1
	v_mov_b32_e32 v7, s19
	v_sub_co_u32_e32 v16, vcc, v8, v12
	v_lshl_add_u64 v[14:15], v[10:11], 0, 1
	s_nop 0
	v_subb_co_u32_e64 v5, s[2:3], v5, v7, vcc
	v_subrev_co_u32_e64 v7, s[2:3], s18, v16
	v_subb_co_u32_e32 v1, vcc, v9, v1, vcc
	s_nop 0
	v_subbrev_co_u32_e64 v5, s[2:3], 0, v5, s[2:3]
	v_cmp_le_u32_e64 s[2:3], s19, v5
	v_cmp_le_u32_e32 vcc, s19, v1
	s_nop 0
	v_cndmask_b32_e64 v12, 0, -1, s[2:3]
	v_cmp_le_u32_e64 s[2:3], s18, v7
	s_nop 1
	v_cndmask_b32_e64 v7, 0, -1, s[2:3]
	v_cmp_eq_u32_e64 s[2:3], s19, v5
	s_nop 1
	v_cndmask_b32_e64 v5, v12, v7, s[2:3]
	v_lshl_add_u64 v[12:13], v[10:11], 0, 2
	v_cmp_ne_u32_e64 s[2:3], 0, v5
	v_cndmask_b32_e64 v7, 0, -1, vcc
	v_cmp_le_u32_e32 vcc, s18, v16
	v_cndmask_b32_e64 v5, v15, v13, s[2:3]
	s_nop 0
	v_cndmask_b32_e64 v13, 0, -1, vcc
	v_cmp_eq_u32_e32 vcc, s19, v1
	s_nop 1
	v_cndmask_b32_e32 v1, v7, v13, vcc
	v_cmp_ne_u32_e32 vcc, 0, v1
	v_cndmask_b32_e64 v1, v14, v12, s[2:3]
	s_nop 0
	v_cndmask_b32_e32 v11, v11, v5, vcc
	v_cndmask_b32_e32 v10, v10, v1, vcc
.LBB0_4:                                ;   in Loop: Header=BB0_2 Depth=1
	s_andn2_saveexec_b64 s[2:3], s[20:21]
	s_cbranch_execz .LBB0_6
; %bb.5:                                ;   in Loop: Header=BB0_2 Depth=1
	v_cvt_f32_u32_e32 v1, s18
	s_sub_i32 s20, 0, s18
	v_mov_b32_e32 v11, v4
	v_rcp_iflag_f32_e32 v1, v1
	s_nop 0
	v_mul_f32_e32 v1, 0x4f7ffffe, v1
	v_cvt_u32_f32_e32 v1, v1
	v_mul_lo_u32 v5, s20, v1
	v_mul_hi_u32 v5, v1, v5
	v_add_u32_e32 v1, v1, v5
	v_mul_hi_u32 v1, v8, v1
	v_mul_lo_u32 v5, v1, s18
	v_sub_u32_e32 v5, v8, v5
	v_add_u32_e32 v7, 1, v1
	v_subrev_u32_e32 v10, s18, v5
	v_cmp_le_u32_e32 vcc, s18, v5
	s_nop 1
	v_cndmask_b32_e32 v5, v5, v10, vcc
	v_cndmask_b32_e32 v1, v1, v7, vcc
	v_add_u32_e32 v7, 1, v1
	v_cmp_le_u32_e32 vcc, s18, v5
	s_nop 1
	v_cndmask_b32_e32 v10, v1, v7, vcc
.LBB0_6:                                ;   in Loop: Header=BB0_2 Depth=1
	s_or_b64 exec, exec, s[2:3]
	v_mad_u64_u32 v[12:13], s[2:3], v10, s18, 0
	s_load_dwordx2 s[2:3], s[12:13], 0x0
	s_add_u32 s14, s14, 1
	v_mul_lo_u32 v1, v11, s18
	v_mul_lo_u32 v5, v10, s19
	s_addc_u32 s15, s15, 0
	v_add3_u32 v1, v13, v5, v1
	v_sub_co_u32_e32 v5, vcc, v8, v12
	s_add_u32 s12, s12, 8
	s_nop 0
	v_subb_co_u32_e32 v1, vcc, v9, v1, vcc
	s_addc_u32 s13, s13, 0
	v_mov_b64_e32 v[8:9], s[6:7]
	s_waitcnt lgkmcnt(0)
	v_mul_lo_u32 v1, s2, v1
	v_mul_lo_u32 v7, s3, v5
	v_mad_u64_u32 v[2:3], s[2:3], s2, v5, v[2:3]
	s_add_u32 s16, s16, 8
	v_cmp_ge_u64_e32 vcc, s[14:15], v[8:9]
	v_add3_u32 v3, v7, v3, v1
	s_addc_u32 s17, s17, 0
	s_cbranch_vccnz .LBB0_8
; %bb.7:                                ;   in Loop: Header=BB0_2 Depth=1
	v_mov_b64_e32 v[8:9], v[10:11]
	s_branch .LBB0_2
.LBB0_8:
	s_lshl_b64 s[2:3], s[6:7], 3
	s_add_u32 s2, s10, s2
	s_addc_u32 s3, s11, s3
	s_load_dwordx2 s[6:7], s[2:3], 0x0
	s_load_dwordx2 s[10:11], s[0:1], 0x20
	v_mov_b64_e32 v[8:9], 0
	v_mov_b64_e32 v[28:29], v[8:9]
	;; [unrolled: 1-line block ×3, first 2 shown]
	s_waitcnt lgkmcnt(0)
	v_mad_u64_u32 v[4:5], s[0:1], s6, v10, v[2:3]
	v_mul_lo_u32 v1, s6, v11
	v_mul_lo_u32 v7, s7, v10
	s_mov_b32 s0, 0xf0f0f10
	v_add3_u32 v5, v7, v5, v1
	v_mul_hi_u32 v1, v0, s0
	v_mul_u32_u24_e32 v1, 17, v1
	v_cmp_gt_u64_e32 vcc, s[10:11], v[10:11]
	v_sub_u32_e32 v2, v0, v1
	v_lshl_add_u64 v[4:5], v[4:5], 3, s[8:9]
	v_mov_b64_e32 v[0:1], v[8:9]
	v_mov_b64_e32 v[12:13], v[8:9]
	;; [unrolled: 1-line block ×5, first 2 shown]
                                        ; implicit-def: $vgpr10
                                        ; implicit-def: $vgpr7
                                        ; implicit-def: $vgpr14
                                        ; implicit-def: $vgpr34
                                        ; implicit-def: $vgpr32
                                        ; implicit-def: $vgpr23
                                        ; implicit-def: $vgpr41
                                        ; implicit-def: $vgpr21
                                        ; implicit-def: $vgpr19
                                        ; implicit-def: $vgpr38
                                        ; implicit-def: $vgpr36
	s_and_saveexec_b64 s[0:1], vcc
	s_cbranch_execz .LBB0_10
; %bb.9:
	v_mov_b32_e32 v3, 0
	v_lshl_add_u64 v[20:21], v[2:3], 3, v[4:5]
	global_load_dwordx2 v[8:9], v[20:21], off
	global_load_dwordx2 v[12:13], v[20:21], off offset:136
	global_load_dwordx2 v[28:29], v[20:21], off offset:272
	;; [unrolled: 1-line block ×15, first 2 shown]
	s_waitcnt vmcnt(7)
	v_mov_b32_e32 v7, v11
	s_waitcnt vmcnt(3)
	v_mov_b32_e32 v23, v40
	;; [unrolled: 2-line block ×3, first 2 shown]
.LBB0_10:
	s_or_b64 exec, exec, s[0:1]
	s_mov_b32 s0, 0x24924925
	v_mul_hi_u32 v3, v6, s0
	v_sub_u32_e32 v11, v6, v3
	v_lshrrev_b32_e32 v11, 1, v11
	v_add_u32_e32 v3, v11, v3
	v_lshrrev_b32_e32 v3, 2, v3
	v_mul_lo_u32 v3, v3, 7
	v_sub_f32_e32 v50, v29, v35
	v_add_f32_e32 v58, v29, v29
	v_sub_f32_e32 v20, v24, v32
	s_waitcnt vmcnt(0)
	v_sub_f32_e32 v29, v27, v37
	v_sub_u32_e32 v3, v6, v3
	v_sub_f32_e32 v6, v1, v41
	v_add_f32_e32 v44, v1, v1
	v_sub_f32_e32 v1, v28, v34
	v_sub_f32_e32 v59, v30, v38
	;; [unrolled: 1-line block ×4, first 2 shown]
	v_fma_f32 v18, v30, 2.0, -v59
	v_fma_f32 v60, v31, 2.0, -v11
	v_add_f32_e32 v30, v13, v13
	v_sub_f32_e32 v22, v25, v33
	v_add_f32_e32 v32, v25, v25
	v_fma_f32 v25, v24, 2.0, -v20
	v_sub_f32_e32 v64, v1, v11
	v_fma_f32 v11, v20, 2.0, -v48
	v_sub_f32_e32 v20, v13, v15
	v_mov_b32_e32 v31, v16
	v_mul_u32_u24_e32 v57, 0x110, v3
	v_fma_f32 v3, v28, 2.0, -v1
	v_pk_add_f32 v[30:31], v[30:31], v[20:21] neg_lo:[0,1] neg_hi:[0,1]
	v_add_f32_e32 v34, v16, v16
	v_sub_f32_e32 v24, v3, v18
	v_mov_b32_e32 v35, v17
	v_mov_b32_e32 v18, v31
	v_sub_f32_e32 v33, v26, v36
	v_pk_add_f32 v[18:19], v[34:35], v[18:19] neg_lo:[0,1] neg_hi:[0,1]
	v_fma_f32 v52, v27, 2.0, -v29
	v_fma_f32 v16, v17, 2.0, -v19
	v_mov_b32_e32 v17, v20
	v_pk_add_f32 v[38:39], v[32:33], v[22:23] op_sel_hi:[1,0] neg_lo:[0,1] neg_hi:[0,1]
	v_mov_b32_e32 v53, 0x3f3504f3
	s_mov_b32 s1, 0x3f3504f3
	v_pk_add_f32 v[34:35], v[30:31], v[16:17] neg_lo:[0,1] neg_hi:[0,1]
	v_pk_add_f32 v[16:17], v[30:31], v[16:17]
	v_pk_add_f32 v[40:41], v[32:33], v[22:23] op_sel_hi:[1,0]
	v_pk_add_f32 v[46:47], v[38:39], v[52:53] neg_lo:[0,1] neg_hi:[0,1]
	v_sub_f32_e32 v13, v12, v14
	v_add_f32_e32 v42, v9, v9
	v_fma_f32 v28, v26, 2.0, -v33
	v_fma_f32 v26, v3, 2.0, -v24
	;; [unrolled: 1-line block ×3, first 2 shown]
	v_pk_mul_f32 v[32:33], v[40:41], s[0:1]
	v_fma_f32 v20, v20, 2.0, -v17
	v_fma_f32 v3, v38, 2.0, -v46
	v_mov_b32_e32 v45, v9
	v_fma_f32 v9, v22, 2.0, -v41
	v_pk_fma_f32 v[14:15], v[40:41], s[0:1], v[16:17]
	v_fma_f32 v12, v12, 2.0, -v13
	v_sub_f32_e32 v36, v25, v28
	v_mul_f32_e32 v37, 0x3f3504f3, v48
	v_sub_f32_e32 v32, v30, v3
	v_fmamk_f32 v3, v9, 0xbf3504f3, v20
	v_mov_b32_e32 v14, v34
	v_pk_add_f32 v[18:19], v[12:13], v[18:19] neg_lo:[0,1] neg_hi:[0,1]
	v_fma_f32 v27, v1, 2.0, -v64
	v_mul_f32_e32 v1, 0x3f3504f3, v11
	v_mov_b32_e32 v35, v17
	v_fmac_f32_e32 v3, 0x3f3504f3, v11
	v_pk_add_f32 v[14:15], v[14:15], v[36:37]
	v_fma_f32 v13, v13, 2.0, -v19
	v_fma_f32 v28, v25, 2.0, -v36
	;; [unrolled: 1-line block ×3, first 2 shown]
	v_pk_fma_f32 v[20:21], v[34:35], 2.0, v[14:15] op_sel_hi:[1,0,1] neg_lo:[0,0,1] neg_hi:[0,0,1]
	v_pk_add_f32 v[36:37], v[12:13], v[12:13]
	v_pk_add_f32 v[34:35], v[12:13], v[0:1] neg_lo:[0,1] neg_hi:[0,1]
	v_mul_f32_e32 v17, 0x3f3504f3, v9
	v_mov_b32_e32 v37, v35
	v_mov_b32_e32 v16, v18
	v_pk_add_f32 v[40:41], v[36:37], v[16:17] neg_lo:[0,1] neg_hi:[0,1]
	v_mov_b32_e32 v43, v0
	v_fma_f32 v56, v13, 2.0, -v41
	v_fmamk_f32 v13, v48, 0x3f3504f3, v19
	v_pk_add_f32 v[48:49], v[44:45], v[6:7] neg_lo:[0,1] neg_hi:[0,1]
	v_mov_b32_e32 v47, v33
	v_mov_b32_e32 v22, v49
	s_mov_b32 s7, 0x3f6c835e
	v_mov_b32_e32 v12, v18
	s_mov_b32 s6, s1
	v_sub_f32_e32 v9, v8, v10
	v_pk_add_f32 v[42:43], v[42:43], v[22:23] neg_lo:[0,1] neg_hi:[0,1]
	v_pk_add_f32 v[12:13], v[12:13], v[46:47] neg_lo:[0,1] neg_hi:[0,1]
	v_fma_f32 v8, v8, 2.0, -v9
	v_fma_f32 v0, v0, 2.0, -v43
	v_mov_b32_e32 v1, v6
	v_mul_f32_e32 v7, 0x3ec3ef15, v15
	v_pk_mul_f32 v[46:47], v[14:15], s[6:7]
	v_mov_b32_e32 v61, v53
	v_pk_add_f32 v[52:53], v[58:59], v[50:51] op_sel_hi:[1,0] neg_lo:[0,1] neg_hi:[0,1]
	v_pk_add_f32 v[14:15], v[58:59], v[50:51] op_sel_hi:[1,0]
	v_pk_add_f32 v[0:1], v[8:9], v[0:1] neg_lo:[0,1] neg_hi:[0,1]
	v_mov_b32_e32 v53, v15
	v_fma_f32 v6, v50, 2.0, -v15
	v_pk_fma_f32 v[8:9], v[8:9], 2.0, v[0:1] op_sel_hi:[1,0,1] neg_lo:[0,0,1] neg_hi:[0,0,1]
	v_pk_add_f32 v[50:51], v[52:53], v[60:61] neg_lo:[0,1] neg_hi:[0,1]
	v_pk_mul_f32 v[14:15], v[14:15], s[0:1]
	v_mul_f32_e32 v31, 0x3f3504f3, v27
	v_mov_b32_e32 v51, v15
	v_fmamk_f32 v15, v27, 0xbf3504f3, v9
	v_mov_b32_e32 v14, v8
	v_mul_f32_e32 v27, 0x3f3504f3, v6
	v_mov_b32_e32 v29, 0x3f6c835e
	v_pk_fma_f32 v[16:17], v[18:19], 2.0, v[12:13] op_sel_hi:[1,0,1] neg_lo:[0,0,1] neg_hi:[0,0,1]
	v_pk_add_f32 v[18:19], v[14:15], v[26:27] neg_lo:[0,1] neg_hi:[0,1]
	v_pk_add_f32 v[36:37], v[40:41], v[28:29] neg_lo:[0,1] neg_hi:[0,1]
	v_pk_fma_f32 v[14:15], v[8:9], 2.0, v[18:19] op_sel_hi:[1,0,1] neg_lo:[0,0,1] neg_hi:[0,0,1]
	v_fmamk_f32 v59, v64, 0x3f3504f3, v1
	v_mov_b32_e32 v58, v0
	s_mov_b32 s3, 0x3ec3ef15
	v_mul_f32_e32 v63, 0x3ec3ef15, v54
	s_mov_b32 s2, s1
	v_fma_f32 v62, v40, 2.0, -v36
	v_pk_mul_f32 v[38:39], v[16:17], s[6:7]
	v_fmamk_f32 v9, v56, 0xbf6c835e, v15
	v_mov_b32_e32 v8, v14
	v_pk_add_f32 v[58:59], v[58:59], v[50:51] neg_lo:[0,1] neg_hi:[0,1]
	v_pk_mul_f32 v[34:35], v[20:21], s[2:3]
	v_mul_f32_e32 v17, 0x3ec3ef15, v17
	v_pk_mul_f32 v[44:45], v[12:13], s[2:3]
	v_pk_add_f32 v[8:9], v[8:9], v[62:63] neg_lo:[0,1] neg_hi:[0,1]
	v_pk_fma_f32 v[60:61], v[0:1], 2.0, v[58:59] op_sel_hi:[1,0,1] neg_lo:[0,0,1] neg_hi:[0,0,1]
	v_mov_b32_e32 v16, v38
	v_mul_f32_e32 v11, 0x3f6c835e, v21
	v_mul_f32_e32 v21, 0x3f6c835e, v13
	v_pk_fma_f32 v[0:1], v[14:15], 2.0, v[8:9] op_sel_hi:[1,0,1] neg_lo:[0,0,1] neg_hi:[0,0,1]
	v_pk_add_f32 v[14:15], v[60:61], v[16:17] neg_lo:[0,1] neg_hi:[0,1]
	v_mov_b32_e32 v10, v34
	v_mov_b32_e32 v20, v44
	v_mul_f32_e32 v33, 0x3f6c835e, v3
	v_pk_add_f32 v[10:11], v[14:15], v[10:11] neg_lo:[0,1] neg_hi:[0,1]
	v_fmamk_f32 v15, v41, 0x3ec3ef15, v19
	v_mov_b32_e32 v14, v18
	v_pk_add_f32 v[20:21], v[58:59], v[20:21]
	v_mov_b32_e32 v6, v46
	v_lshl_add_u32 v12, v2, 6, 0
	v_pk_add_f32 v[14:15], v[14:15], v[32:33] neg_lo:[0,1] neg_hi:[0,1]
	v_pk_add_f32 v[6:7], v[20:21], v[6:7] neg_lo:[0,1] neg_hi:[0,1]
	v_mul_f32_e32 v25, 0x3f3504f3, v64
	v_lshl_add_u32 v55, v57, 2, v12
	v_pk_fma_f32 v[16:17], v[60:61], 2.0, v[10:11] op_sel_hi:[1,0,1] neg_lo:[0,0,1] neg_hi:[0,0,1]
	v_pk_fma_f32 v[18:19], v[18:19], 2.0, v[14:15] op_sel_hi:[1,0,1] neg_lo:[0,0,1] neg_hi:[0,0,1]
	;; [unrolled: 1-line block ×3, first 2 shown]
	v_cmp_gt_u32_e64 s[0:1], 16, v2
	v_lshlrev_b32_e32 v53, 2, v57
	v_lshlrev_b32_e32 v57, 2, v2
	ds_write2_b64 v55, v[0:1], v[16:17] offset1:1
	ds_write2_b64 v55, v[18:19], v[20:21] offset0:2 offset1:3
	ds_write2_b64 v55, v[8:9], v[10:11] offset0:4 offset1:5
	;; [unrolled: 1-line block ×3, first 2 shown]
	s_waitcnt lgkmcnt(0)
	s_barrier
	s_waitcnt lgkmcnt(0)
                                        ; implicit-def: $vgpr13
	s_and_saveexec_b64 s[2:3], s[0:1]
	s_cbranch_execz .LBB0_12
; %bb.11:
	v_mul_i32_i24_e32 v1, 0xffffffc4, v2
	v_add3_u32 v0, 0, v53, v57
	v_add3_u32 v1, v12, v1, v53
	ds_read_b32 v0, v0
	ds_read2_b32 v[6:7], v1 offset0:16 offset1:32
	ds_read2_b32 v[8:9], v1 offset0:48 offset1:64
	;; [unrolled: 1-line block ×7, first 2 shown]
	v_add_u32_e32 v1, 0x200, v1
	ds_read2_b32 v[12:13], v1 offset0:112 offset1:128
	s_waitcnt lgkmcnt(7)
	v_mov_b32_e32 v1, v6
	v_mov_b32_e32 v16, v7
	s_waitcnt lgkmcnt(6)
	v_mov_b32_e32 v17, v8
	v_mov_b32_e32 v18, v9
	;; [unrolled: 3-line block ×7, first 2 shown]
	s_waitcnt lgkmcnt(0)
	v_mov_b32_e32 v7, v12
.LBB0_12:
	s_or_b64 exec, exec, s[2:3]
	v_pk_mul_f32 v[28:29], v[40:41], v[28:29]
	v_pk_add_f32 v[40:41], v[42:43], v[48:49]
	v_mov_b32_e32 v37, v29
	v_pk_add_f32 v[28:29], v[42:43], v[48:49] neg_lo:[0,1] neg_hi:[0,1]
	v_mov_b32_e32 v43, v22
	v_mov_b32_e32 v29, v41
	v_pk_fma_f32 v[22:23], v[42:43], 2.0, v[28:29] op_sel_hi:[1,0,1] neg_lo:[0,0,1] neg_hi:[0,0,1]
	v_fma_f32 v32, v30, 2.0, -v32
	v_fma_f32 v30, v52, 2.0, -v50
	v_sub_f32_e32 v27, v23, v27
	v_mov_b32_e32 v26, v22
	v_pk_add_f32 v[48:49], v[22:23], v[30:31] neg_lo:[0,1] neg_hi:[0,1]
	v_pk_add_f32 v[26:27], v[26:27], v[30:31]
	v_pk_add_f32 v[30:31], v[40:41], v[50:51]
	v_mov_b32_e32 v49, v27
	v_mov_b32_e32 v30, v28
	v_pk_fma_f32 v[22:23], v[22:23], 2.0, v[48:49] op_sel_hi:[1,0,1] neg_lo:[0,0,1] neg_hi:[0,0,1]
	v_pk_add_f32 v[50:51], v[30:31], v[24:25]
	v_mul_f32_e32 v33, 0x3ec3ef15, v56
	v_pk_fma_f32 v[28:29], v[28:29], 2.0, v[50:51] op_sel_hi:[1,0,1] neg_lo:[0,0,1] neg_hi:[0,0,1]
	v_fmamk_f32 v25, v54, 0xbf6c835e, v23
	v_mov_b32_e32 v24, v22
	v_pk_add_f32 v[30:31], v[28:29], v[34:35] neg_lo:[0,1] neg_hi:[0,1]
	v_pk_add_f32 v[34:35], v[22:23], v[32:33] neg_lo:[0,1] neg_hi:[0,1]
	v_pk_add_f32 v[32:33], v[24:25], v[32:33]
	v_fmac_f32_e32 v27, 0x3ec3ef15, v3
	v_mov_b32_e32 v35, v33
	v_pk_fma_f32 v[24:25], v[22:23], 2.0, v[34:35] op_sel_hi:[1,0,1] neg_lo:[0,0,1] neg_hi:[0,0,1]
	v_mov_b32_e32 v26, v48
	v_pk_add_f32 v[22:23], v[50:51], v[46:47]
	v_pk_add_f32 v[30:31], v[38:39], v[30:31]
	;; [unrolled: 1-line block ×4, first 2 shown]
	v_pk_fma_f32 v[42:43], v[28:29], 2.0, v[30:31] op_sel_hi:[1,0,1] neg_lo:[0,0,1] neg_hi:[0,0,1]
	v_pk_fma_f32 v[40:41], v[48:49], 2.0, v[26:27] op_sel_hi:[1,0,1] neg_lo:[0,0,1] neg_hi:[0,0,1]
	;; [unrolled: 1-line block ×3, first 2 shown]
	s_barrier
	ds_write2_b64 v55, v[24:25], v[42:43] offset1:1
	ds_write2_b64 v55, v[40:41], v[36:37] offset0:2 offset1:3
	ds_write2_b64 v55, v[34:35], v[30:31] offset0:4 offset1:5
	;; [unrolled: 1-line block ×3, first 2 shown]
	s_waitcnt lgkmcnt(0)
	s_barrier
	s_waitcnt lgkmcnt(0)
                                        ; implicit-def: $vgpr29
	s_and_saveexec_b64 s[2:3], s[0:1]
	s_cbranch_execnz .LBB0_15
; %bb.13:
	s_or_b64 exec, exec, s[2:3]
	s_and_b64 s[0:1], vcc, s[0:1]
	s_and_saveexec_b64 s[2:3], s[0:1]
	s_cbranch_execnz .LBB0_16
.LBB0_14:
	s_endpgm
.LBB0_15:
	v_add3_u32 v3, 0, v53, v57
	ds_read_b32 v24, v3
	v_add3_u32 v3, 0, v57, v53
	ds_read2_b32 v[38:39], v3 offset0:16 offset1:32
	ds_read2_b32 v[42:43], v3 offset0:48 offset1:64
	;; [unrolled: 1-line block ×7, first 2 shown]
	v_add_u32_e32 v3, 0x200, v3
	ds_read2_b32 v[28:29], v3 offset0:112 offset1:128
	s_waitcnt lgkmcnt(4)
	v_mov_b32_e32 v37, v22
	v_mov_b32_e32 v34, v23
	s_waitcnt lgkmcnt(3)
	v_mov_b32_e32 v33, v26
	v_mov_b32_e32 v30, v27
	;; [unrolled: 3-line block ×5, first 2 shown]
	v_mov_b32_e32 v41, v40
	v_mov_b32_e32 v40, v43
	;; [unrolled: 1-line block ×5, first 2 shown]
	s_or_b64 exec, exec, s[2:3]
	s_and_b64 s[0:1], vcc, s[0:1]
	s_and_saveexec_b64 s[2:3], s[0:1]
	s_cbranch_execz .LBB0_14
.LBB0_16:
	v_lshlrev_b32_e32 v38, 4, v2
	v_mov_b32_e32 v39, 0
	v_lshl_add_u64 v[52:53], v[38:39], 3, s[4:5]
	global_load_dwordx4 v[44:47], v[52:53], off offset:16
	global_load_dwordx4 v[48:51], v[52:53], off
	v_mov_b32_e32 v32, v43
	v_mov_b32_e32 v12, v17
	;; [unrolled: 1-line block ×4, first 2 shown]
	s_mov_b32 s22, 0xbf65296c
	s_mov_b32 s0, 0x3ee437d1
	;; [unrolled: 1-line block ×7, first 2 shown]
	v_mov_b32_e32 v3, v39
	s_mov_b32 s4, 0x3dbcf732
	s_mov_b32 s38, 0xbf763a35
	;; [unrolled: 1-line block ×6, first 2 shown]
	v_lshl_add_u64 v[2:3], v[2:3], 3, v[4:5]
	s_mov_b32 s14, 0xbf59a7d5
	s_mov_b32 s26, 0xbe3c28d5
	;; [unrolled: 1-line block ×9, first 2 shown]
	s_waitcnt vmcnt(1)
	v_pk_mul_f32 v[56:57], v[40:41], v[46:47] op_sel_hi:[0,1]
	v_pk_mul_f32 v[54:55], v[32:33], v[44:45] op_sel_hi:[0,1]
	v_pk_fma_f32 v[60:61], v[18:19], v[46:47], v[56:57] op_sel:[0,0,1] op_sel_hi:[1,1,0] neg_lo:[0,0,1] neg_hi:[0,0,1]
	v_pk_fma_f32 v[46:47], v[18:19], v[46:47], v[56:57] op_sel:[0,0,1] op_sel_hi:[0,1,0]
	v_mov_b32_e32 v18, v25
	v_pk_fma_f32 v[58:59], v[12:13], v[44:45], v[54:55] op_sel:[0,0,1] op_sel_hi:[1,1,0] neg_lo:[0,0,1] neg_hi:[0,0,1]
	v_pk_fma_f32 v[54:55], v[28:29], v[44:45], v[54:55] op_sel:[0,0,1] op_sel_hi:[0,1,0]
	v_mov_b32_e32 v12, v1
	s_waitcnt vmcnt(0)
	v_pk_mul_f32 v[44:45], v[18:19], v[48:49] op_sel_hi:[0,1]
	v_pk_mul_f32 v[42:43], v[42:43], v[50:51] op_sel_hi:[0,1]
	v_pk_fma_f32 v[56:57], v[38:39], v[48:49], v[44:45] op_sel:[0,0,1] op_sel_hi:[1,1,0] neg_lo:[0,0,1] neg_hi:[0,0,1]
	v_pk_fma_f32 v[48:49], v[12:13], v[48:49], v[44:45] op_sel:[0,0,1] op_sel_hi:[0,1,0]
	v_pk_fma_f32 v[62:63], v[16:17], v[50:51], v[42:43] op_sel:[0,0,1] op_sel_hi:[1,1,0] neg_lo:[0,0,1] neg_hi:[0,0,1]
	v_pk_fma_f32 v[50:51], v[16:17], v[50:51], v[42:43] op_sel:[0,0,1] op_sel_hi:[0,1,0]
	global_load_dwordx4 v[42:45], v[52:53], off offset:32
	v_mov_b32_e32 v18, v41
	v_mov_b32_e32 v12, v19
	v_mov_b32_e32 v16, v19
	v_mov_b32_e32 v28, v37
	v_mov_b32_e32 v57, v49
	v_mov_b32_e32 v1, v24
	v_mov_b32_e32 v63, v51
	v_mov_b32_e32 v59, v55
	v_mov_b32_e32 v61, v47
	s_waitcnt vmcnt(0)
	v_pk_mul_f32 v[18:19], v[18:19], v[42:43] op_sel_hi:[0,1]
	v_pk_fma_f32 v[40:41], v[12:13], v[42:43], v[18:19] op_sel:[0,0,1] op_sel_hi:[1,1,0] neg_lo:[0,0,1] neg_hi:[0,0,1]
	v_pk_fma_f32 v[42:43], v[16:17], v[42:43], v[18:19] op_sel:[0,0,1] op_sel_hi:[0,1,0]
	v_pk_mul_f32 v[16:17], v[36:37], v[44:45] op_sel_hi:[0,1]
	v_pk_fma_f32 v[64:65], v[20:21], v[44:45], v[16:17] op_sel:[0,0,1] op_sel_hi:[1,1,0] neg_lo:[0,0,1] neg_hi:[0,0,1]
	v_pk_fma_f32 v[44:45], v[20:21], v[44:45], v[16:17] op_sel:[0,0,1] op_sel_hi:[0,1,0]
	global_load_dwordx4 v[16:19], v[52:53], off offset:48
	v_mov_b32_e32 v12, v21
	v_mov_b32_e32 v20, v21
	;; [unrolled: 1-line block ×4, first 2 shown]
	s_waitcnt vmcnt(0)
	v_pk_mul_f32 v[36:37], v[28:29], v[16:17] op_sel_hi:[0,1]
	v_pk_fma_f32 v[66:67], v[12:13], v[16:17], v[36:37] op_sel:[0,0,1] op_sel_hi:[1,1,0] neg_lo:[0,0,1] neg_hi:[0,0,1]
	v_pk_fma_f32 v[20:21], v[20:21], v[16:17], v[36:37] op_sel:[0,0,1] op_sel_hi:[0,1,0]
	v_pk_mul_f32 v[16:17], v[34:35], v[18:19] op_sel_hi:[0,1]
	v_pk_fma_f32 v[34:35], v[8:9], v[18:19], v[16:17] op_sel:[0,0,1] op_sel_hi:[1,1,0] neg_lo:[0,0,1] neg_hi:[0,0,1]
	v_pk_fma_f32 v[36:37], v[8:9], v[18:19], v[16:17] op_sel:[0,0,1] op_sel_hi:[0,1,0]
	global_load_dwordx4 v[16:19], v[52:53], off offset:64
	v_mov_b32_e32 v20, v33
	v_mov_b32_e32 v8, v9
	;; [unrolled: 1-line block ×5, first 2 shown]
	s_waitcnt vmcnt(0)
	v_pk_mul_f32 v[32:33], v[20:21], v[16:17] op_sel_hi:[0,1]
	v_pk_fma_f32 v[68:69], v[8:9], v[16:17], v[32:33] op_sel:[0,0,1] op_sel_hi:[1,1,0] neg_lo:[0,0,1] neg_hi:[0,0,1]
	v_pk_mul_f32 v[8:9], v[30:31], v[18:19] op_sel_hi:[0,1]
	v_pk_fma_f32 v[32:33], v[12:13], v[16:17], v[32:33] op_sel:[0,0,1] op_sel_hi:[0,1,0]
	v_pk_fma_f32 v[70:71], v[10:11], v[18:19], v[8:9] op_sel:[0,0,1] op_sel_hi:[1,1,0] neg_lo:[0,0,1] neg_hi:[0,0,1]
	v_pk_fma_f32 v[72:73], v[10:11], v[18:19], v[8:9] op_sel:[0,0,1] op_sel_hi:[0,1,0]
	v_mov_b32_e32 v12, v11
	v_mov_b32_e32 v16, v11
	global_load_dwordx4 v[8:11], v[52:53], off offset:80
	v_mov_b32_e32 v18, v31
	v_mov_b32_e32 v69, v33
	;; [unrolled: 1-line block ×3, first 2 shown]
	v_pk_add_f32 v[24:25], v[66:67], v[70:71] neg_lo:[0,1] neg_hi:[0,1]
	v_pk_add_f32 v[4:5], v[70:71], v[66:67]
	s_waitcnt vmcnt(0)
	v_pk_mul_f32 v[18:19], v[18:19], v[8:9] op_sel_hi:[0,1]
	v_pk_fma_f32 v[74:75], v[12:13], v[8:9], v[18:19] op_sel:[0,0,1] op_sel_hi:[1,1,0] neg_lo:[0,0,1] neg_hi:[0,0,1]
	v_pk_fma_f32 v[18:19], v[16:17], v[8:9], v[18:19] op_sel:[0,0,1] op_sel_hi:[0,1,0]
	v_pk_mul_f32 v[8:9], v[26:27], v[10:11] op_sel_hi:[0,1]
	v_pk_fma_f32 v[76:77], v[14:15], v[10:11], v[8:9] op_sel:[0,0,1] op_sel_hi:[1,1,0] neg_lo:[0,0,1] neg_hi:[0,0,1]
	v_pk_fma_f32 v[16:17], v[14:15], v[10:11], v[8:9] op_sel:[0,0,1] op_sel_hi:[0,1,0]
	global_load_dwordx4 v[8:11], v[52:53], off offset:96
	v_mov_b32_e32 v16, v27
	v_mov_b32_e32 v12, v15
	;; [unrolled: 1-line block ×5, first 2 shown]
	v_pk_add_f32 v[20:21], v[40:41], v[76:77] neg_lo:[0,1] neg_hi:[0,1]
	s_waitcnt vmcnt(0)
	v_pk_mul_f32 v[26:27], v[16:17], v[8:9] op_sel_hi:[0,1]
	v_pk_fma_f32 v[78:79], v[12:13], v[8:9], v[26:27] op_sel:[0,0,1] op_sel_hi:[1,1,0] neg_lo:[0,0,1] neg_hi:[0,0,1]
	v_pk_fma_f32 v[14:15], v[14:15], v[8:9], v[26:27] op_sel:[0,0,1] op_sel_hi:[0,1,0]
	v_pk_mul_f32 v[8:9], v[22:23], v[10:11] op_sel_hi:[0,1]
	v_pk_fma_f32 v[80:81], v[6:7], v[10:11], v[8:9] op_sel:[0,0,1] op_sel_hi:[1,1,0] neg_lo:[0,0,1] neg_hi:[0,0,1]
	v_pk_fma_f32 v[26:27], v[6:7], v[10:11], v[8:9] op_sel:[0,0,1] op_sel_hi:[0,1,0]
	global_load_dwordx4 v[8:11], v[52:53], off offset:112
	v_mov_b32_e32 v6, v29
	v_mov_b32_e32 v12, v23
	;; [unrolled: 1-line block ×3, first 2 shown]
	v_pk_add_f32 v[16:17], v[58:59], v[80:81] neg_lo:[0,1] neg_hi:[0,1]
	v_mov_b32_e32 v79, v15
	v_pk_add_f32 v[14:15], v[80:81], v[58:59]
	v_pk_add_f32 v[18:19], v[60:61], v[78:79] neg_lo:[0,1] neg_hi:[0,1]
	v_pk_add_f32 v[22:23], v[64:65], v[74:75] neg_lo:[0,1] neg_hi:[0,1]
	v_pk_mul_f32 v[38:39], v[18:19], s[8:9] op_sel:[1,0] op_sel_hi:[0,0]
	s_waitcnt vmcnt(0)
	v_pk_mul_f32 v[28:29], v[6:7], v[10:11] op_sel_hi:[0,1]
	v_mov_b32_e32 v6, v13
	v_pk_fma_f32 v[52:53], v[6:7], v[10:11], v[28:29] op_sel:[0,0,1] op_sel_hi:[1,1,0] neg_lo:[0,0,1] neg_hi:[0,0,1]
	v_pk_fma_f32 v[28:29], v[6:7], v[10:11], v[28:29] op_sel:[0,0,1] op_sel_hi:[0,1,0]
	v_mov_b32_e32 v10, v7
	v_pk_mul_f32 v[12:13], v[12:13], v[8:9] op_sel_hi:[0,1]
	v_pk_fma_f32 v[30:31], v[10:11], v[8:9], v[12:13] op_sel:[0,0,1] op_sel_hi:[0,1,0]
	v_pk_add_f32 v[10:11], v[0:1], v[56:57]
	v_mov_b32_e32 v6, v7
	v_pk_add_f32 v[10:11], v[10:11], v[62:63]
	v_pk_fma_f32 v[82:83], v[6:7], v[8:9], v[12:13] op_sel:[0,0,1] op_sel_hi:[1,1,0] neg_lo:[0,0,1] neg_hi:[0,0,1]
	v_pk_add_f32 v[10:11], v[10:11], v[58:59]
	v_mov_b32_e32 v83, v31
	v_pk_add_f32 v[26:27], v[10:11], v[60:61]
	v_mov_b32_e32 v53, v29
	v_pk_add_f32 v[32:33], v[26:27], v[40:41]
	v_pk_mul_f32 v[28:29], v[16:17], s[22:23] op_sel:[1,0] op_sel_hi:[0,0]
	v_pk_add_f32 v[30:31], v[32:33], v[64:65]
	v_pk_fma_f32 v[42:43], v[14:15], s[0:1], v[28:29] op_sel_hi:[1,0,1]
	v_pk_add_f32 v[30:31], v[30:31], v[66:67]
	v_pk_fma_f32 v[44:45], v[14:15], s[0:1], v[28:29] op_sel_hi:[1,0,1] neg_lo:[0,0,1] neg_hi:[0,0,1]
	v_pk_add_f32 v[28:29], v[30:31], v[34:35]
	v_pk_add_f32 v[10:11], v[68:69], v[34:35]
	;; [unrolled: 1-line block ×3, first 2 shown]
	v_pk_add_f32 v[26:27], v[34:35], v[68:69] neg_lo:[0,1] neg_hi:[0,1]
	v_pk_add_f32 v[28:29], v[70:71], v[28:29]
	v_pk_add_f32 v[34:35], v[56:57], v[52:53] neg_lo:[0,1] neg_hi:[0,1]
	v_pk_add_f32 v[28:29], v[74:75], v[28:29]
	v_pk_add_f32 v[32:33], v[52:53], v[56:57]
	;; [unrolled: 1-line block ×3, first 2 shown]
	v_pk_add_f32 v[36:37], v[62:63], v[82:83] neg_lo:[0,1] neg_hi:[0,1]
	v_pk_add_f32 v[28:29], v[78:79], v[28:29]
	v_pk_mul_f32 v[48:49], v[34:35], s[24:25] op_sel:[1,0] op_sel_hi:[0,0]
	v_pk_add_f32 v[28:29], v[80:81], v[28:29]
	v_pk_add_f32 v[30:31], v[82:83], v[62:63]
	v_pk_mul_f32 v[50:51], v[36:37], s[12:13] op_sel:[1,0] op_sel_hi:[0,0]
	v_pk_add_f32 v[28:29], v[82:83], v[28:29]
	v_pk_fma_f32 v[54:55], v[32:33], s[6:7], v[48:49] op_sel_hi:[1,0,1]
	v_pk_fma_f32 v[48:49], v[32:33], s[6:7], v[48:49] op_sel_hi:[1,0,1] neg_lo:[0,0,1] neg_hi:[0,0,1]
	v_pk_add_f32 v[52:53], v[52:53], v[28:29]
	v_mov_b32_e32 v28, v54
	v_mov_b32_e32 v29, v49
	v_pk_fma_f32 v[56:57], v[30:31], s[10:11], v[50:51] op_sel_hi:[1,0,1]
	v_pk_fma_f32 v[50:51], v[30:31], s[10:11], v[50:51] op_sel_hi:[1,0,1] neg_lo:[0,0,1] neg_hi:[0,0,1]
	v_pk_add_f32 v[12:13], v[78:79], v[60:61]
	v_pk_add_f32 v[28:29], v[0:1], v[28:29]
	v_mov_b32_e32 v58, v56
	v_mov_b32_e32 v59, v51
	;; [unrolled: 1-line block ×4, first 2 shown]
	v_pk_add_f32 v[28:29], v[28:29], v[58:59]
	v_pk_fma_f32 v[58:59], v[12:13], s[4:5], v[38:39] op_sel_hi:[1,0,1]
	v_pk_fma_f32 v[38:39], v[12:13], s[4:5], v[38:39] op_sel_hi:[1,0,1] neg_lo:[0,0,1] neg_hi:[0,0,1]
	v_pk_add_f32 v[8:9], v[76:77], v[40:41]
	v_pk_mul_f32 v[40:41], v[20:21], s[38:39] op_sel:[1,0] op_sel_hi:[0,0]
	v_pk_add_f32 v[28:29], v[28:29], v[46:47]
	v_mov_b32_e32 v46, v58
	v_mov_b32_e32 v47, v39
	v_pk_add_f32 v[28:29], v[28:29], v[46:47]
	v_pk_fma_f32 v[46:47], v[8:9], s[2:3], v[40:41] op_sel_hi:[1,0,1]
	v_pk_fma_f32 v[40:41], v[8:9], s[2:3], v[40:41] op_sel_hi:[1,0,1] neg_lo:[0,0,1] neg_hi:[0,0,1]
	v_mov_b32_e32 v60, v46
	v_mov_b32_e32 v61, v41
	v_pk_add_f32 v[6:7], v[74:75], v[64:65]
	v_pk_add_f32 v[28:29], v[28:29], v[60:61]
	v_pk_mul_f32 v[60:61], v[22:23], s[20:21] op_sel:[1,0] op_sel_hi:[0,0]
	v_pk_fma_f32 v[62:63], v[6:7], s[16:17], v[60:61] op_sel_hi:[1,0,1]
	v_pk_fma_f32 v[60:61], v[6:7], s[16:17], v[60:61] op_sel_hi:[1,0,1] neg_lo:[0,0,1] neg_hi:[0,0,1]
	v_mov_b32_e32 v49, v55
	v_mov_b32_e32 v64, v62
	;; [unrolled: 1-line block ×4, first 2 shown]
	v_pk_add_f32 v[48:49], v[0:1], v[48:49]
	v_pk_add_f32 v[28:29], v[28:29], v[64:65]
	v_pk_mul_f32 v[64:65], v[24:25], s[28:29] op_sel:[1,0] op_sel_hi:[0,0]
	v_pk_add_f32 v[48:49], v[48:49], v[50:51]
	v_mov_b32_e32 v45, v43
	v_pk_fma_f32 v[66:67], v[4:5], s[14:15], v[64:65] op_sel_hi:[1,0,1]
	v_pk_fma_f32 v[64:65], v[4:5], s[14:15], v[64:65] op_sel_hi:[1,0,1] neg_lo:[0,0,1] neg_hi:[0,0,1]
	v_pk_add_f32 v[42:43], v[48:49], v[44:45]
	v_mov_b32_e32 v39, v59
	v_mov_b32_e32 v68, v66
	;; [unrolled: 1-line block ×3, first 2 shown]
	v_pk_add_f32 v[38:39], v[42:43], v[38:39]
	v_mov_b32_e32 v41, v47
	v_pk_add_f32 v[28:29], v[28:29], v[68:69]
	v_pk_mul_f32 v[68:69], v[26:27], s[26:27] op_sel:[1,0] op_sel_hi:[0,0]
	v_pk_add_f32 v[38:39], v[38:39], v[40:41]
	v_mov_b32_e32 v61, v63
	v_pk_fma_f32 v[70:71], v[10:11], s[18:19], v[68:69] op_sel_hi:[1,0,1]
	v_pk_fma_f32 v[68:69], v[10:11], s[18:19], v[68:69] op_sel_hi:[1,0,1] neg_lo:[0,0,1] neg_hi:[0,0,1]
	v_pk_add_f32 v[38:39], v[38:39], v[60:61]
	v_mov_b32_e32 v65, v67
	v_mov_b32_e32 v73, v69
	v_pk_add_f32 v[38:39], v[38:39], v[64:65]
	v_mov_b32_e32 v69, v71
	v_pk_add_f32 v[38:39], v[38:39], v[68:69]
	global_store_dwordx2 v[2:3], v[38:39], off offset:128
	v_pk_mul_f32 v[38:39], v[34:35], s[26:27] op_sel:[1,0] op_sel_hi:[0,0]
	v_pk_fma_f32 v[40:41], v[32:33], s[18:19], v[38:39] op_sel_hi:[1,0,1]
	v_pk_fma_f32 v[38:39], v[32:33], s[18:19], v[38:39] op_sel_hi:[1,0,1] neg_lo:[0,0,1] neg_hi:[0,0,1]
	v_pk_mul_f32 v[44:45], v[36:37], s[30:31] op_sel:[1,0] op_sel_hi:[0,0]
	v_mov_b32_e32 v42, v40
	v_mov_b32_e32 v43, v39
	v_pk_fma_f32 v[46:47], v[30:31], s[6:7], v[44:45] op_sel_hi:[1,0,1]
	v_pk_fma_f32 v[44:45], v[30:31], s[6:7], v[44:45] op_sel_hi:[1,0,1] neg_lo:[0,0,1] neg_hi:[0,0,1]
	v_pk_add_f32 v[42:43], v[0:1], v[42:43]
	v_mov_b32_e32 v48, v46
	v_mov_b32_e32 v49, v45
	v_pk_add_f32 v[42:43], v[42:43], v[48:49]
	v_pk_mul_f32 v[48:49], v[16:17], s[28:29] op_sel:[1,0] op_sel_hi:[0,0]
	v_pk_fma_f32 v[50:51], v[14:15], s[14:15], v[48:49] op_sel_hi:[1,0,1]
	v_pk_fma_f32 v[48:49], v[14:15], s[14:15], v[48:49] op_sel_hi:[1,0,1] neg_lo:[0,0,1] neg_hi:[0,0,1]
	global_store_dwordx2 v[2:3], v[52:53], off
	v_mov_b32_e32 v52, v50
	v_mov_b32_e32 v53, v49
	v_pk_add_f32 v[42:43], v[42:43], v[52:53]
	v_pk_mul_f32 v[52:53], v[18:19], s[36:37] op_sel:[1,0] op_sel_hi:[0,0]
	v_pk_fma_f32 v[54:55], v[12:13], s[10:11], v[52:53] op_sel_hi:[1,0,1]
	v_pk_fma_f32 v[52:53], v[12:13], s[10:11], v[52:53] op_sel_hi:[1,0,1] neg_lo:[0,0,1] neg_hi:[0,0,1]
	v_mov_b32_e32 v56, v54
	v_mov_b32_e32 v57, v53
	v_pk_add_f32 v[42:43], v[42:43], v[56:57]
	v_pk_mul_f32 v[56:57], v[20:21], s[20:21] op_sel:[1,0] op_sel_hi:[0,0]
	v_pk_fma_f32 v[58:59], v[8:9], s[16:17], v[56:57] op_sel_hi:[1,0,1]
	v_pk_fma_f32 v[56:57], v[8:9], s[16:17], v[56:57] op_sel_hi:[1,0,1] neg_lo:[0,0,1] neg_hi:[0,0,1]
	;; [unrolled: 6-line block ×3, first 2 shown]
	v_mov_b32_e32 v39, v41
	v_mov_b32_e32 v64, v62
	;; [unrolled: 1-line block ×4, first 2 shown]
	v_pk_add_f32 v[38:39], v[0:1], v[38:39]
	v_pk_add_f32 v[42:43], v[42:43], v[64:65]
	v_pk_mul_f32 v[64:65], v[24:25], s[38:39] op_sel:[1,0] op_sel_hi:[0,0]
	v_pk_add_f32 v[38:39], v[38:39], v[44:45]
	v_mov_b32_e32 v49, v51
	v_pk_fma_f32 v[66:67], v[4:5], s[2:3], v[64:65] op_sel_hi:[1,0,1]
	v_pk_fma_f32 v[64:65], v[4:5], s[2:3], v[64:65] op_sel_hi:[1,0,1] neg_lo:[0,0,1] neg_hi:[0,0,1]
	v_pk_add_f32 v[38:39], v[38:39], v[48:49]
	v_mov_b32_e32 v53, v55
	v_mov_b32_e32 v68, v66
	;; [unrolled: 1-line block ×3, first 2 shown]
	v_pk_add_f32 v[38:39], v[38:39], v[52:53]
	v_mov_b32_e32 v57, v59
	v_pk_add_f32 v[42:43], v[42:43], v[68:69]
	v_pk_mul_f32 v[68:69], v[26:27], s[44:45] op_sel:[1,0] op_sel_hi:[0,0]
	v_pk_add_f32 v[38:39], v[38:39], v[56:57]
	v_mov_b32_e32 v61, v63
	v_mov_b32_e32 v72, v70
	v_pk_fma_f32 v[70:71], v[10:11], s[4:5], v[68:69] op_sel_hi:[1,0,1]
	v_pk_fma_f32 v[68:69], v[10:11], s[4:5], v[68:69] op_sel_hi:[1,0,1] neg_lo:[0,0,1] neg_hi:[0,0,1]
	v_pk_add_f32 v[38:39], v[38:39], v[60:61]
	v_mov_b32_e32 v65, v67
	v_pk_add_f32 v[28:29], v[28:29], v[72:73]
	v_mov_b32_e32 v73, v69
	;; [unrolled: 2-line block ×3, first 2 shown]
	v_mov_b32_e32 v72, v70
	v_pk_add_f32 v[38:39], v[38:39], v[68:69]
	v_pk_add_f32 v[42:43], v[42:43], v[72:73]
	global_store_dwordx2 v[2:3], v[38:39], off offset:1024
	global_store_dwordx2 v[2:3], v[42:43], off offset:1152
	v_pk_mul_f32 v[38:39], v[34:35], s[28:29] op_sel:[1,0] op_sel_hi:[0,0]
	v_pk_fma_f32 v[40:41], v[32:33], s[14:15], v[38:39] op_sel_hi:[1,0,1]
	v_pk_fma_f32 v[38:39], v[32:33], s[14:15], v[38:39] op_sel_hi:[1,0,1] neg_lo:[0,0,1] neg_hi:[0,0,1]
	v_pk_mul_f32 v[44:45], v[36:37], s[34:35] op_sel:[1,0] op_sel_hi:[0,0]
	v_mov_b32_e32 v42, v40
	v_mov_b32_e32 v43, v39
	v_pk_fma_f32 v[46:47], v[30:31], s[0:1], v[44:45] op_sel_hi:[1,0,1]
	v_pk_fma_f32 v[44:45], v[30:31], s[0:1], v[44:45] op_sel_hi:[1,0,1] neg_lo:[0,0,1] neg_hi:[0,0,1]
	v_pk_add_f32 v[42:43], v[0:1], v[42:43]
	v_mov_b32_e32 v48, v46
	v_mov_b32_e32 v49, v45
	v_pk_add_f32 v[42:43], v[42:43], v[48:49]
	v_pk_mul_f32 v[48:49], v[16:17], s[8:9] op_sel:[1,0] op_sel_hi:[0,0]
	v_pk_fma_f32 v[50:51], v[14:15], s[4:5], v[48:49] op_sel_hi:[1,0,1]
	v_pk_fma_f32 v[48:49], v[14:15], s[4:5], v[48:49] op_sel_hi:[1,0,1] neg_lo:[0,0,1] neg_hi:[0,0,1]
	v_mov_b32_e32 v52, v50
	v_mov_b32_e32 v53, v49
	v_pk_add_f32 v[42:43], v[42:43], v[52:53]
	v_pk_mul_f32 v[52:53], v[18:19], s[42:43] op_sel:[1,0] op_sel_hi:[0,0]
	v_pk_fma_f32 v[54:55], v[12:13], s[16:17], v[52:53] op_sel_hi:[1,0,1]
	v_pk_fma_f32 v[52:53], v[12:13], s[16:17], v[52:53] op_sel_hi:[1,0,1] neg_lo:[0,0,1] neg_hi:[0,0,1]
	v_mov_b32_e32 v56, v54
	v_mov_b32_e32 v57, v53
	v_pk_add_f32 v[42:43], v[42:43], v[56:57]
	v_pk_mul_f32 v[56:57], v[20:21], s[24:25] op_sel:[1,0] op_sel_hi:[0,0]
	v_pk_fma_f32 v[58:59], v[8:9], s[6:7], v[56:57] op_sel_hi:[1,0,1]
	v_pk_fma_f32 v[56:57], v[8:9], s[6:7], v[56:57] op_sel_hi:[1,0,1] neg_lo:[0,0,1] neg_hi:[0,0,1]
	v_mov_b32_e32 v60, v58
	v_mov_b32_e32 v61, v57
	v_pk_add_f32 v[42:43], v[42:43], v[60:61]
	v_pk_mul_f32 v[60:61], v[22:23], s[26:27] op_sel:[1,0] op_sel_hi:[0,0]
	v_pk_fma_f32 v[62:63], v[6:7], s[18:19], v[60:61] op_sel_hi:[1,0,1]
	v_pk_fma_f32 v[60:61], v[6:7], s[18:19], v[60:61] op_sel_hi:[1,0,1] neg_lo:[0,0,1] neg_hi:[0,0,1]
	v_mov_b32_e32 v39, v41
	v_mov_b32_e32 v64, v62
	;; [unrolled: 1-line block ×4, first 2 shown]
	v_pk_add_f32 v[38:39], v[0:1], v[38:39]
	v_pk_add_f32 v[42:43], v[42:43], v[64:65]
	v_pk_mul_f32 v[64:65], v[24:25], s[36:37] op_sel:[1,0] op_sel_hi:[0,0]
	v_pk_add_f32 v[38:39], v[38:39], v[44:45]
	v_mov_b32_e32 v49, v51
	v_pk_fma_f32 v[66:67], v[4:5], s[10:11], v[64:65] op_sel_hi:[1,0,1]
	v_pk_fma_f32 v[64:65], v[4:5], s[10:11], v[64:65] op_sel_hi:[1,0,1] neg_lo:[0,0,1] neg_hi:[0,0,1]
	v_pk_add_f32 v[38:39], v[38:39], v[48:49]
	v_mov_b32_e32 v53, v55
	v_mov_b32_e32 v68, v66
	;; [unrolled: 1-line block ×3, first 2 shown]
	v_pk_add_f32 v[38:39], v[38:39], v[52:53]
	v_mov_b32_e32 v57, v59
	v_pk_add_f32 v[42:43], v[42:43], v[68:69]
	v_pk_mul_f32 v[68:69], v[26:27], s[38:39] op_sel:[1,0] op_sel_hi:[0,0]
	v_pk_add_f32 v[38:39], v[38:39], v[56:57]
	v_mov_b32_e32 v61, v63
	v_pk_fma_f32 v[70:71], v[10:11], s[2:3], v[68:69] op_sel_hi:[1,0,1]
	v_pk_fma_f32 v[68:69], v[10:11], s[2:3], v[68:69] op_sel_hi:[1,0,1] neg_lo:[0,0,1] neg_hi:[0,0,1]
	v_pk_add_f32 v[38:39], v[38:39], v[60:61]
	v_mov_b32_e32 v65, v67
	v_mov_b32_e32 v73, v69
	v_pk_add_f32 v[38:39], v[38:39], v[64:65]
	v_mov_b32_e32 v69, v71
	v_mov_b32_e32 v72, v70
	v_pk_add_f32 v[38:39], v[38:39], v[68:69]
	v_pk_add_f32 v[42:43], v[42:43], v[72:73]
	global_store_dwordx2 v[2:3], v[38:39], off offset:896
	global_store_dwordx2 v[2:3], v[42:43], off offset:1280
	v_pk_mul_f32 v[38:39], v[34:35], s[20:21] op_sel:[1,0] op_sel_hi:[0,0]
	v_pk_fma_f32 v[40:41], v[32:33], s[16:17], v[38:39] op_sel_hi:[1,0,1]
	v_pk_fma_f32 v[38:39], v[32:33], s[16:17], v[38:39] op_sel_hi:[1,0,1] neg_lo:[0,0,1] neg_hi:[0,0,1]
	v_pk_mul_f32 v[44:45], v[36:37], s[40:41] op_sel:[1,0] op_sel_hi:[0,0]
	v_mov_b32_e32 v42, v40
	v_mov_b32_e32 v43, v39
	v_pk_fma_f32 v[46:47], v[30:31], s[2:3], v[44:45] op_sel_hi:[1,0,1]
	v_pk_fma_f32 v[44:45], v[30:31], s[2:3], v[44:45] op_sel_hi:[1,0,1] neg_lo:[0,0,1] neg_hi:[0,0,1]
	v_pk_add_f32 v[42:43], v[0:1], v[42:43]
	v_mov_b32_e32 v48, v46
	v_mov_b32_e32 v49, v45
	v_pk_add_f32 v[42:43], v[42:43], v[48:49]
	v_pk_mul_f32 v[48:49], v[16:17], s[24:25] op_sel:[1,0] op_sel_hi:[0,0]
	v_pk_fma_f32 v[50:51], v[14:15], s[6:7], v[48:49] op_sel_hi:[1,0,1]
	v_pk_fma_f32 v[48:49], v[14:15], s[6:7], v[48:49] op_sel_hi:[1,0,1] neg_lo:[0,0,1] neg_hi:[0,0,1]
	v_mov_b32_e32 v52, v50
	v_mov_b32_e32 v53, v49
	v_pk_add_f32 v[42:43], v[42:43], v[52:53]
	v_pk_mul_f32 v[52:53], v[18:19], s[28:29] op_sel:[1,0] op_sel_hi:[0,0]
	v_pk_fma_f32 v[54:55], v[12:13], s[14:15], v[52:53] op_sel_hi:[1,0,1]
	v_pk_fma_f32 v[52:53], v[12:13], s[14:15], v[52:53] op_sel_hi:[1,0,1] neg_lo:[0,0,1] neg_hi:[0,0,1]
	;; [unrolled: 6-line block ×4, first 2 shown]
	v_mov_b32_e32 v39, v41
	v_mov_b32_e32 v64, v62
	;; [unrolled: 1-line block ×4, first 2 shown]
	v_pk_add_f32 v[38:39], v[0:1], v[38:39]
	v_pk_add_f32 v[42:43], v[42:43], v[64:65]
	v_pk_mul_f32 v[64:65], v[24:25], s[26:27] op_sel:[1,0] op_sel_hi:[0,0]
	v_pk_add_f32 v[38:39], v[38:39], v[44:45]
	v_mov_b32_e32 v49, v51
	v_pk_fma_f32 v[66:67], v[4:5], s[18:19], v[64:65] op_sel_hi:[1,0,1]
	v_pk_fma_f32 v[64:65], v[4:5], s[18:19], v[64:65] op_sel_hi:[1,0,1] neg_lo:[0,0,1] neg_hi:[0,0,1]
	v_pk_add_f32 v[38:39], v[38:39], v[48:49]
	v_mov_b32_e32 v53, v55
	v_mov_b32_e32 v68, v66
	;; [unrolled: 1-line block ×3, first 2 shown]
	v_pk_add_f32 v[38:39], v[38:39], v[52:53]
	v_mov_b32_e32 v57, v59
	v_pk_add_f32 v[42:43], v[42:43], v[68:69]
	v_pk_mul_f32 v[68:69], v[26:27], s[34:35] op_sel:[1,0] op_sel_hi:[0,0]
	v_pk_add_f32 v[38:39], v[38:39], v[56:57]
	v_mov_b32_e32 v61, v63
	v_pk_fma_f32 v[70:71], v[10:11], s[0:1], v[68:69] op_sel_hi:[1,0,1]
	v_pk_fma_f32 v[68:69], v[10:11], s[0:1], v[68:69] op_sel_hi:[1,0,1] neg_lo:[0,0,1] neg_hi:[0,0,1]
	v_pk_add_f32 v[38:39], v[38:39], v[60:61]
	v_mov_b32_e32 v65, v67
	v_mov_b32_e32 v73, v69
	v_pk_add_f32 v[38:39], v[38:39], v[64:65]
	v_mov_b32_e32 v69, v71
	v_mov_b32_e32 v72, v70
	v_pk_add_f32 v[38:39], v[38:39], v[68:69]
	v_pk_add_f32 v[42:43], v[42:43], v[72:73]
	global_store_dwordx2 v[2:3], v[38:39], off offset:768
	global_store_dwordx2 v[2:3], v[42:43], off offset:1408
	v_pk_mul_f32 v[38:39], v[34:35], s[38:39] op_sel:[1,0] op_sel_hi:[0,0]
	s_mov_b32 s38, 0x3f06c442
	v_pk_fma_f32 v[40:41], v[32:33], s[2:3], v[38:39] op_sel_hi:[1,0,1]
	v_pk_fma_f32 v[38:39], v[32:33], s[2:3], v[38:39] op_sel_hi:[1,0,1] neg_lo:[0,0,1] neg_hi:[0,0,1]
	v_pk_mul_f32 v[44:45], v[36:37], s[38:39] op_sel:[1,0] op_sel_hi:[0,0]
	v_mov_b32_e32 v42, v40
	v_mov_b32_e32 v43, v39
	v_pk_fma_f32 v[46:47], v[30:31], s[14:15], v[44:45] op_sel_hi:[1,0,1]
	v_pk_fma_f32 v[44:45], v[30:31], s[14:15], v[44:45] op_sel_hi:[1,0,1] neg_lo:[0,0,1] neg_hi:[0,0,1]
	v_pk_add_f32 v[42:43], v[0:1], v[42:43]
	v_mov_b32_e32 v48, v46
	v_mov_b32_e32 v49, v45
	v_pk_add_f32 v[42:43], v[42:43], v[48:49]
	v_pk_mul_f32 v[48:49], v[16:17], s[36:37] op_sel:[1,0] op_sel_hi:[0,0]
	v_pk_fma_f32 v[50:51], v[14:15], s[10:11], v[48:49] op_sel_hi:[1,0,1]
	v_pk_fma_f32 v[48:49], v[14:15], s[10:11], v[48:49] op_sel_hi:[1,0,1] neg_lo:[0,0,1] neg_hi:[0,0,1]
	v_mov_b32_e32 v52, v50
	v_mov_b32_e32 v53, v49
	v_pk_add_f32 v[42:43], v[42:43], v[52:53]
	v_pk_mul_f32 v[52:53], v[18:19], s[22:23] op_sel:[1,0] op_sel_hi:[0,0]
	v_pk_fma_f32 v[54:55], v[12:13], s[0:1], v[52:53] op_sel_hi:[1,0,1]
	v_pk_fma_f32 v[52:53], v[12:13], s[0:1], v[52:53] op_sel_hi:[1,0,1] neg_lo:[0,0,1] neg_hi:[0,0,1]
	;; [unrolled: 6-line block ×4, first 2 shown]
	v_mov_b32_e32 v39, v41
	v_mov_b32_e32 v64, v62
	;; [unrolled: 1-line block ×4, first 2 shown]
	v_pk_add_f32 v[38:39], v[0:1], v[38:39]
	v_pk_add_f32 v[42:43], v[42:43], v[64:65]
	v_pk_mul_f32 v[64:65], v[24:25], s[24:25] op_sel:[1,0] op_sel_hi:[0,0]
	v_pk_add_f32 v[38:39], v[38:39], v[44:45]
	v_mov_b32_e32 v49, v51
	v_pk_fma_f32 v[66:67], v[4:5], s[6:7], v[64:65] op_sel_hi:[1,0,1]
	v_pk_fma_f32 v[64:65], v[4:5], s[6:7], v[64:65] op_sel_hi:[1,0,1] neg_lo:[0,0,1] neg_hi:[0,0,1]
	v_pk_add_f32 v[38:39], v[38:39], v[48:49]
	v_mov_b32_e32 v53, v55
	v_mov_b32_e32 v68, v66
	;; [unrolled: 1-line block ×3, first 2 shown]
	v_pk_add_f32 v[38:39], v[38:39], v[52:53]
	v_mov_b32_e32 v57, v59
	v_pk_add_f32 v[42:43], v[42:43], v[68:69]
	v_pk_mul_f32 v[68:69], v[26:27], s[20:21] op_sel:[1,0] op_sel_hi:[0,0]
	v_pk_add_f32 v[38:39], v[38:39], v[56:57]
	v_mov_b32_e32 v61, v63
	v_pk_fma_f32 v[70:71], v[10:11], s[16:17], v[68:69] op_sel_hi:[1,0,1]
	v_pk_fma_f32 v[68:69], v[10:11], s[16:17], v[68:69] op_sel_hi:[1,0,1] neg_lo:[0,0,1] neg_hi:[0,0,1]
	v_pk_add_f32 v[38:39], v[38:39], v[60:61]
	v_mov_b32_e32 v65, v67
	v_mov_b32_e32 v73, v69
	v_pk_add_f32 v[38:39], v[38:39], v[64:65]
	v_mov_b32_e32 v69, v71
	v_mov_b32_e32 v72, v70
	v_pk_add_f32 v[38:39], v[38:39], v[68:69]
	v_pk_add_f32 v[42:43], v[42:43], v[72:73]
	global_store_dwordx2 v[2:3], v[38:39], off offset:640
	global_store_dwordx2 v[2:3], v[42:43], off offset:1536
	v_pk_mul_f32 v[38:39], v[34:35], s[8:9] op_sel:[1,0] op_sel_hi:[0,0]
	v_pk_fma_f32 v[40:41], v[32:33], s[4:5], v[38:39] op_sel_hi:[1,0,1]
	v_pk_fma_f32 v[38:39], v[32:33], s[4:5], v[38:39] op_sel_hi:[1,0,1] neg_lo:[0,0,1] neg_hi:[0,0,1]
	v_pk_mul_f32 v[44:45], v[36:37], s[26:27] op_sel:[1,0] op_sel_hi:[0,0]
	v_mov_b32_e32 v42, v40
	v_mov_b32_e32 v43, v39
	v_pk_fma_f32 v[46:47], v[30:31], s[18:19], v[44:45] op_sel_hi:[1,0,1]
	v_pk_fma_f32 v[44:45], v[30:31], s[18:19], v[44:45] op_sel_hi:[1,0,1] neg_lo:[0,0,1] neg_hi:[0,0,1]
	v_pk_add_f32 v[42:43], v[0:1], v[42:43]
	v_mov_b32_e32 v48, v46
	v_mov_b32_e32 v49, v45
	v_pk_add_f32 v[42:43], v[42:43], v[48:49]
	v_pk_mul_f32 v[48:49], v[16:17], s[40:41] op_sel:[1,0] op_sel_hi:[0,0]
	v_pk_fma_f32 v[50:51], v[14:15], s[2:3], v[48:49] op_sel_hi:[1,0,1]
	v_pk_fma_f32 v[48:49], v[14:15], s[2:3], v[48:49] op_sel_hi:[1,0,1] neg_lo:[0,0,1] neg_hi:[0,0,1]
	v_mov_b32_e32 v52, v50
	v_mov_b32_e32 v53, v49
	v_pk_add_f32 v[42:43], v[42:43], v[52:53]
	v_pk_mul_f32 v[52:53], v[18:19], s[30:31] op_sel:[1,0] op_sel_hi:[0,0]
	v_pk_fma_f32 v[54:55], v[12:13], s[6:7], v[52:53] op_sel_hi:[1,0,1]
	v_pk_fma_f32 v[52:53], v[12:13], s[6:7], v[52:53] op_sel_hi:[1,0,1] neg_lo:[0,0,1] neg_hi:[0,0,1]
	;; [unrolled: 6-line block ×4, first 2 shown]
	v_mov_b32_e32 v39, v41
	v_mov_b32_e32 v64, v62
	;; [unrolled: 1-line block ×4, first 2 shown]
	v_pk_add_f32 v[38:39], v[0:1], v[38:39]
	v_pk_add_f32 v[42:43], v[42:43], v[64:65]
	v_pk_mul_f32 v[64:65], v[24:25], s[42:43] op_sel:[1,0] op_sel_hi:[0,0]
	v_pk_add_f32 v[38:39], v[38:39], v[44:45]
	v_mov_b32_e32 v49, v51
	v_pk_fma_f32 v[66:67], v[4:5], s[16:17], v[64:65] op_sel_hi:[1,0,1]
	v_pk_fma_f32 v[64:65], v[4:5], s[16:17], v[64:65] op_sel_hi:[1,0,1] neg_lo:[0,0,1] neg_hi:[0,0,1]
	v_pk_add_f32 v[38:39], v[38:39], v[48:49]
	v_mov_b32_e32 v53, v55
	v_mov_b32_e32 v68, v66
	;; [unrolled: 1-line block ×3, first 2 shown]
	v_pk_add_f32 v[38:39], v[38:39], v[52:53]
	v_mov_b32_e32 v57, v59
	v_pk_add_f32 v[42:43], v[42:43], v[68:69]
	v_pk_mul_f32 v[68:69], v[26:27], s[36:37] op_sel:[1,0] op_sel_hi:[0,0]
	v_pk_add_f32 v[38:39], v[38:39], v[56:57]
	v_mov_b32_e32 v61, v63
	v_pk_fma_f32 v[70:71], v[10:11], s[10:11], v[68:69] op_sel_hi:[1,0,1]
	v_pk_fma_f32 v[68:69], v[10:11], s[10:11], v[68:69] op_sel_hi:[1,0,1] neg_lo:[0,0,1] neg_hi:[0,0,1]
	v_pk_add_f32 v[38:39], v[38:39], v[60:61]
	v_mov_b32_e32 v65, v67
	v_mov_b32_e32 v73, v69
	v_pk_add_f32 v[38:39], v[38:39], v[64:65]
	v_mov_b32_e32 v69, v71
	v_mov_b32_e32 v72, v70
	v_pk_add_f32 v[38:39], v[38:39], v[68:69]
	v_pk_add_f32 v[42:43], v[42:43], v[72:73]
	global_store_dwordx2 v[2:3], v[38:39], off offset:512
	global_store_dwordx2 v[2:3], v[42:43], off offset:1664
	v_pk_mul_f32 v[38:39], v[34:35], s[22:23] op_sel:[1,0] op_sel_hi:[0,0]
	v_pk_fma_f32 v[40:41], v[32:33], s[0:1], v[38:39] op_sel_hi:[1,0,1]
	v_pk_fma_f32 v[38:39], v[32:33], s[0:1], v[38:39] op_sel_hi:[1,0,1] neg_lo:[0,0,1] neg_hi:[0,0,1]
	v_pk_mul_f32 v[44:45], v[36:37], s[20:21] op_sel:[1,0] op_sel_hi:[0,0]
	v_mov_b32_e32 v42, v40
	v_mov_b32_e32 v43, v39
	v_pk_fma_f32 v[46:47], v[30:31], s[16:17], v[44:45] op_sel_hi:[1,0,1]
	v_pk_fma_f32 v[44:45], v[30:31], s[16:17], v[44:45] op_sel_hi:[1,0,1] neg_lo:[0,0,1] neg_hi:[0,0,1]
	v_pk_add_f32 v[42:43], v[0:1], v[42:43]
	v_mov_b32_e32 v48, v46
	v_mov_b32_e32 v49, v45
	s_mov_b32 s22, 0x3e3c28d5
	v_pk_add_f32 v[42:43], v[42:43], v[48:49]
	v_pk_mul_f32 v[48:49], v[16:17], s[22:23] op_sel:[1,0] op_sel_hi:[0,0]
	v_pk_fma_f32 v[50:51], v[14:15], s[18:19], v[48:49] op_sel_hi:[1,0,1]
	v_pk_fma_f32 v[48:49], v[14:15], s[18:19], v[48:49] op_sel_hi:[1,0,1] neg_lo:[0,0,1] neg_hi:[0,0,1]
	v_mov_b32_e32 v52, v50
	v_mov_b32_e32 v53, v49
	v_pk_add_f32 v[42:43], v[42:43], v[52:53]
	v_pk_mul_f32 v[52:53], v[18:19], s[40:41] op_sel:[1,0] op_sel_hi:[0,0]
	v_pk_fma_f32 v[54:55], v[12:13], s[2:3], v[52:53] op_sel_hi:[1,0,1]
	v_pk_fma_f32 v[52:53], v[12:13], s[2:3], v[52:53] op_sel_hi:[1,0,1] neg_lo:[0,0,1] neg_hi:[0,0,1]
	v_mov_b32_e32 v56, v54
	v_mov_b32_e32 v57, v53
	;; [unrolled: 6-line block ×4, first 2 shown]
	v_mov_b32_e32 v65, v61
	v_mov_b32_e32 v45, v47
	v_pk_add_f32 v[38:39], v[0:1], v[38:39]
	v_pk_add_f32 v[42:43], v[42:43], v[64:65]
	v_pk_mul_f32 v[64:65], v[24:25], s[8:9] op_sel:[1,0] op_sel_hi:[0,0]
	v_pk_add_f32 v[38:39], v[38:39], v[44:45]
	v_mov_b32_e32 v49, v51
	v_pk_fma_f32 v[66:67], v[4:5], s[4:5], v[64:65] op_sel_hi:[1,0,1]
	v_pk_fma_f32 v[64:65], v[4:5], s[4:5], v[64:65] op_sel_hi:[1,0,1] neg_lo:[0,0,1] neg_hi:[0,0,1]
	v_pk_add_f32 v[38:39], v[38:39], v[48:49]
	v_mov_b32_e32 v53, v55
	v_mov_b32_e32 v68, v66
	;; [unrolled: 1-line block ×3, first 2 shown]
	v_pk_add_f32 v[38:39], v[38:39], v[52:53]
	v_mov_b32_e32 v57, v59
	v_pk_add_f32 v[42:43], v[42:43], v[68:69]
	v_pk_mul_f32 v[68:69], v[26:27], s[28:29] op_sel:[1,0] op_sel_hi:[0,0]
	v_pk_add_f32 v[38:39], v[38:39], v[56:57]
	v_mov_b32_e32 v61, v63
	v_pk_fma_f32 v[70:71], v[10:11], s[14:15], v[68:69] op_sel_hi:[1,0,1]
	v_pk_fma_f32 v[68:69], v[10:11], s[14:15], v[68:69] op_sel_hi:[1,0,1] neg_lo:[0,0,1] neg_hi:[0,0,1]
	v_pk_add_f32 v[38:39], v[38:39], v[60:61]
	v_mov_b32_e32 v65, v67
	v_mov_b32_e32 v73, v69
	v_pk_add_f32 v[38:39], v[38:39], v[64:65]
	v_mov_b32_e32 v69, v71
	v_mov_b32_e32 v72, v70
	v_pk_add_f32 v[38:39], v[38:39], v[68:69]
	v_pk_mul_f32 v[34:35], v[34:35], s[12:13] op_sel:[1,0] op_sel_hi:[0,0]
	v_pk_add_f32 v[42:43], v[42:43], v[72:73]
	global_store_dwordx2 v[2:3], v[38:39], off offset:384
	global_store_dwordx2 v[2:3], v[42:43], off offset:1792
	v_pk_mul_f32 v[36:37], v[36:37], s[8:9] op_sel:[1,0] op_sel_hi:[0,0]
	v_pk_fma_f32 v[38:39], v[32:33], s[10:11], v[34:35] op_sel_hi:[1,0,1]
	v_pk_fma_f32 v[32:33], v[32:33], s[10:11], v[34:35] op_sel_hi:[1,0,1] neg_lo:[0,0,1] neg_hi:[0,0,1]
	v_mov_b32_e32 v34, v38
	v_mov_b32_e32 v35, v33
	v_pk_fma_f32 v[40:41], v[30:31], s[4:5], v[36:37] op_sel_hi:[1,0,1]
	v_pk_fma_f32 v[30:31], v[30:31], s[4:5], v[36:37] op_sel_hi:[1,0,1] neg_lo:[0,0,1] neg_hi:[0,0,1]
	v_pk_mul_f32 v[16:17], v[16:17], s[20:21] op_sel:[1,0] op_sel_hi:[0,0]
	v_pk_add_f32 v[34:35], v[0:1], v[34:35]
	v_mov_b32_e32 v36, v40
	v_mov_b32_e32 v37, v31
	v_pk_add_f32 v[34:35], v[34:35], v[36:37]
	v_pk_fma_f32 v[36:37], v[14:15], s[16:17], v[16:17] op_sel_hi:[1,0,1]
	v_pk_fma_f32 v[14:15], v[14:15], s[16:17], v[16:17] op_sel_hi:[1,0,1] neg_lo:[0,0,1] neg_hi:[0,0,1]
	v_pk_mul_f32 v[18:19], v[18:19], s[26:27] op_sel:[1,0] op_sel_hi:[0,0]
	v_mov_b32_e32 v16, v36
	v_mov_b32_e32 v17, v15
	v_pk_add_f32 v[16:17], v[34:35], v[16:17]
	v_pk_fma_f32 v[34:35], v[12:13], s[18:19], v[18:19] op_sel_hi:[1,0,1]
	v_pk_fma_f32 v[12:13], v[12:13], s[18:19], v[18:19] op_sel_hi:[1,0,1] neg_lo:[0,0,1] neg_hi:[0,0,1]
	v_pk_mul_f32 v[20:21], v[20:21], s[38:39] op_sel:[1,0] op_sel_hi:[0,0]
	v_mov_b32_e32 v18, v34
	v_mov_b32_e32 v19, v13
	v_pk_add_f32 v[16:17], v[16:17], v[18:19]
	v_pk_fma_f32 v[18:19], v[8:9], s[14:15], v[20:21] op_sel_hi:[1,0,1]
	v_pk_fma_f32 v[8:9], v[8:9], s[14:15], v[20:21] op_sel_hi:[1,0,1] neg_lo:[0,0,1] neg_hi:[0,0,1]
	v_mov_b32_e32 v33, v39
	v_pk_mul_f32 v[22:23], v[22:23], s[40:41] op_sel:[1,0] op_sel_hi:[0,0]
	v_mov_b32_e32 v20, v18
	v_mov_b32_e32 v21, v9
	v_pk_add_f32 v[0:1], v[0:1], v[32:33]
	v_mov_b32_e32 v31, v41
	v_pk_add_f32 v[16:17], v[16:17], v[20:21]
	v_pk_fma_f32 v[20:21], v[6:7], s[2:3], v[22:23] op_sel_hi:[1,0,1]
	v_pk_fma_f32 v[6:7], v[6:7], s[2:3], v[22:23] op_sel_hi:[1,0,1] neg_lo:[0,0,1] neg_hi:[0,0,1]
	v_pk_add_f32 v[0:1], v[0:1], v[30:31]
	v_mov_b32_e32 v15, v37
	v_pk_mul_f32 v[24:25], v[24:25], s[34:35] op_sel:[1,0] op_sel_hi:[0,0]
	v_mov_b32_e32 v22, v20
	v_mov_b32_e32 v23, v7
	v_pk_add_f32 v[0:1], v[0:1], v[14:15]
	v_mov_b32_e32 v13, v35
	v_pk_add_f32 v[16:17], v[16:17], v[22:23]
	v_pk_fma_f32 v[22:23], v[4:5], s[0:1], v[24:25] op_sel_hi:[1,0,1]
	v_pk_fma_f32 v[4:5], v[4:5], s[0:1], v[24:25] op_sel_hi:[1,0,1] neg_lo:[0,0,1] neg_hi:[0,0,1]
	v_pk_add_f32 v[0:1], v[0:1], v[12:13]
	v_mov_b32_e32 v9, v19
	v_pk_mul_f32 v[26:27], v[26:27], s[30:31] op_sel:[1,0] op_sel_hi:[0,0]
	v_mov_b32_e32 v24, v22
	v_mov_b32_e32 v25, v5
	v_pk_add_f32 v[0:1], v[0:1], v[8:9]
	v_mov_b32_e32 v7, v21
	v_pk_add_f32 v[16:17], v[16:17], v[24:25]
	v_pk_fma_f32 v[24:25], v[10:11], s[6:7], v[26:27] op_sel_hi:[1,0,1]
	v_pk_fma_f32 v[10:11], v[10:11], s[6:7], v[26:27] op_sel_hi:[1,0,1] neg_lo:[0,0,1] neg_hi:[0,0,1]
	v_pk_add_f32 v[0:1], v[0:1], v[6:7]
	v_mov_b32_e32 v5, v23
	v_mov_b32_e32 v27, v11
	v_pk_add_f32 v[0:1], v[0:1], v[4:5]
	v_mov_b32_e32 v11, v25
	v_mov_b32_e32 v26, v24
	v_pk_add_f32 v[0:1], v[0:1], v[10:11]
	v_pk_add_f32 v[16:17], v[16:17], v[26:27]
	global_store_dwordx2 v[2:3], v[0:1], off offset:256
	global_store_dwordx2 v[2:3], v[16:17], off offset:1920
	;; [unrolled: 1-line block ×3, first 2 shown]
	s_endpgm
	.section	.rodata,"a",@progbits
	.p2align	6, 0x0
	.amdhsa_kernel fft_rtc_fwd_len272_factors_16_17_wgs_119_tpt_17_halfLds_sp_ip_CI_unitstride_sbrr_dirReg
		.amdhsa_group_segment_fixed_size 0
		.amdhsa_private_segment_fixed_size 0
		.amdhsa_kernarg_size 88
		.amdhsa_user_sgpr_count 2
		.amdhsa_user_sgpr_dispatch_ptr 0
		.amdhsa_user_sgpr_queue_ptr 0
		.amdhsa_user_sgpr_kernarg_segment_ptr 1
		.amdhsa_user_sgpr_dispatch_id 0
		.amdhsa_user_sgpr_kernarg_preload_length 0
		.amdhsa_user_sgpr_kernarg_preload_offset 0
		.amdhsa_user_sgpr_private_segment_size 0
		.amdhsa_uses_dynamic_stack 0
		.amdhsa_enable_private_segment 0
		.amdhsa_system_sgpr_workgroup_id_x 1
		.amdhsa_system_sgpr_workgroup_id_y 0
		.amdhsa_system_sgpr_workgroup_id_z 0
		.amdhsa_system_sgpr_workgroup_info 0
		.amdhsa_system_vgpr_workitem_id 0
		.amdhsa_next_free_vgpr 84
		.amdhsa_next_free_sgpr 46
		.amdhsa_accum_offset 84
		.amdhsa_reserve_vcc 1
		.amdhsa_float_round_mode_32 0
		.amdhsa_float_round_mode_16_64 0
		.amdhsa_float_denorm_mode_32 3
		.amdhsa_float_denorm_mode_16_64 3
		.amdhsa_dx10_clamp 1
		.amdhsa_ieee_mode 1
		.amdhsa_fp16_overflow 0
		.amdhsa_tg_split 0
		.amdhsa_exception_fp_ieee_invalid_op 0
		.amdhsa_exception_fp_denorm_src 0
		.amdhsa_exception_fp_ieee_div_zero 0
		.amdhsa_exception_fp_ieee_overflow 0
		.amdhsa_exception_fp_ieee_underflow 0
		.amdhsa_exception_fp_ieee_inexact 0
		.amdhsa_exception_int_div_zero 0
	.end_amdhsa_kernel
	.text
.Lfunc_end0:
	.size	fft_rtc_fwd_len272_factors_16_17_wgs_119_tpt_17_halfLds_sp_ip_CI_unitstride_sbrr_dirReg, .Lfunc_end0-fft_rtc_fwd_len272_factors_16_17_wgs_119_tpt_17_halfLds_sp_ip_CI_unitstride_sbrr_dirReg
                                        ; -- End function
	.section	.AMDGPU.csdata,"",@progbits
; Kernel info:
; codeLenInByte = 7780
; NumSgprs: 52
; NumVgprs: 84
; NumAgprs: 0
; TotalNumVgprs: 84
; ScratchSize: 0
; MemoryBound: 0
; FloatMode: 240
; IeeeMode: 1
; LDSByteSize: 0 bytes/workgroup (compile time only)
; SGPRBlocks: 6
; VGPRBlocks: 10
; NumSGPRsForWavesPerEU: 52
; NumVGPRsForWavesPerEU: 84
; AccumOffset: 84
; Occupancy: 5
; WaveLimiterHint : 1
; COMPUTE_PGM_RSRC2:SCRATCH_EN: 0
; COMPUTE_PGM_RSRC2:USER_SGPR: 2
; COMPUTE_PGM_RSRC2:TRAP_HANDLER: 0
; COMPUTE_PGM_RSRC2:TGID_X_EN: 1
; COMPUTE_PGM_RSRC2:TGID_Y_EN: 0
; COMPUTE_PGM_RSRC2:TGID_Z_EN: 0
; COMPUTE_PGM_RSRC2:TIDIG_COMP_CNT: 0
; COMPUTE_PGM_RSRC3_GFX90A:ACCUM_OFFSET: 20
; COMPUTE_PGM_RSRC3_GFX90A:TG_SPLIT: 0
	.text
	.p2alignl 6, 3212836864
	.fill 256, 4, 3212836864
	.type	__hip_cuid_da69e301ce03913,@object ; @__hip_cuid_da69e301ce03913
	.section	.bss,"aw",@nobits
	.globl	__hip_cuid_da69e301ce03913
__hip_cuid_da69e301ce03913:
	.byte	0                               ; 0x0
	.size	__hip_cuid_da69e301ce03913, 1

	.ident	"AMD clang version 19.0.0git (https://github.com/RadeonOpenCompute/llvm-project roc-6.4.0 25133 c7fe45cf4b819c5991fe208aaa96edf142730f1d)"
	.section	".note.GNU-stack","",@progbits
	.addrsig
	.addrsig_sym __hip_cuid_da69e301ce03913
	.amdgpu_metadata
---
amdhsa.kernels:
  - .agpr_count:     0
    .args:
      - .actual_access:  read_only
        .address_space:  global
        .offset:         0
        .size:           8
        .value_kind:     global_buffer
      - .offset:         8
        .size:           8
        .value_kind:     by_value
      - .actual_access:  read_only
        .address_space:  global
        .offset:         16
        .size:           8
        .value_kind:     global_buffer
      - .actual_access:  read_only
        .address_space:  global
        .offset:         24
        .size:           8
        .value_kind:     global_buffer
      - .offset:         32
        .size:           8
        .value_kind:     by_value
      - .actual_access:  read_only
        .address_space:  global
        .offset:         40
        .size:           8
        .value_kind:     global_buffer
      - .actual_access:  read_only
        .address_space:  global
        .offset:         48
        .size:           8
        .value_kind:     global_buffer
      - .offset:         56
        .size:           4
        .value_kind:     by_value
      - .actual_access:  read_only
        .address_space:  global
        .offset:         64
        .size:           8
        .value_kind:     global_buffer
      - .actual_access:  read_only
        .address_space:  global
        .offset:         72
        .size:           8
        .value_kind:     global_buffer
      - .address_space:  global
        .offset:         80
        .size:           8
        .value_kind:     global_buffer
    .group_segment_fixed_size: 0
    .kernarg_segment_align: 8
    .kernarg_segment_size: 88
    .language:       OpenCL C
    .language_version:
      - 2
      - 0
    .max_flat_workgroup_size: 119
    .name:           fft_rtc_fwd_len272_factors_16_17_wgs_119_tpt_17_halfLds_sp_ip_CI_unitstride_sbrr_dirReg
    .private_segment_fixed_size: 0
    .sgpr_count:     52
    .sgpr_spill_count: 0
    .symbol:         fft_rtc_fwd_len272_factors_16_17_wgs_119_tpt_17_halfLds_sp_ip_CI_unitstride_sbrr_dirReg.kd
    .uniform_work_group_size: 1
    .uses_dynamic_stack: false
    .vgpr_count:     84
    .vgpr_spill_count: 0
    .wavefront_size: 64
amdhsa.target:   amdgcn-amd-amdhsa--gfx950
amdhsa.version:
  - 1
  - 2
...

	.end_amdgpu_metadata
